;; amdgpu-corpus repo=zjin-lcf/HeCBench kind=compiled arch=gfx906 opt=O3
	.amdgcn_target "amdgcn-amd-amdhsa--gfx906"
	.amdhsa_code_object_version 6
	.text
	.protected	_Z16gamma_correctionP8ImgPixel ; -- Begin function _Z16gamma_correctionP8ImgPixel
	.globl	_Z16gamma_correctionP8ImgPixel
	.p2align	8
	.type	_Z16gamma_correctionP8ImgPixel,@function
_Z16gamma_correctionP8ImgPixel:         ; @_Z16gamma_correctionP8ImgPixel
; %bb.0:
	s_load_dword s2, s[4:5], 0x14
	s_load_dwordx2 s[0:1], s[4:5], 0x0
	s_waitcnt lgkmcnt(0)
	s_and_b32 s2, s2, 0xffff
	s_mul_i32 s6, s6, s2
	v_add_u32_e32 v0, s6, v0
	v_ashrrev_i32_e32 v1, 31, v0
	v_lshlrev_b64 v[0:1], 2, v[0:1]
	v_mov_b32_e32 v2, s1
	v_add_co_u32_e32 v0, vcc, s0, v0
	v_addc_co_u32_e32 v1, vcc, v2, v1, vcc
	global_load_ubyte v2, v[0:1], off offset:2
	global_load_ushort v3, v[0:1], off
	s_mov_b32 s2, 0x437f0000
	s_waitcnt vmcnt(1)
	v_cvt_f32_ubyte0_e32 v2, v2
	s_waitcnt vmcnt(0)
	v_cvt_f32_ubyte1_e32 v4, v3
	v_mul_f32_e32 v4, 0x3f170a3d, v4
	v_cvt_f32_ubyte0_e32 v3, v3
	v_fmac_f32_e32 v4, 0x3e99999a, v2
	v_fmac_f32_e32 v4, 0x3de147ae, v3
	v_div_scale_f32 v2, s[0:1], s2, s2, v4
	v_div_scale_f32 v3, vcc, v4, s2, v4
	v_rcp_f32_e32 v5, v2
	v_fma_f32 v6, -v2, v5, 1.0
	v_fmac_f32_e32 v5, v6, v5
	v_mul_f32_e32 v6, v3, v5
	v_fma_f32 v7, -v2, v6, v3
	v_fmac_f32_e32 v6, v7, v5
	v_fma_f32 v2, -v2, v6, v3
	v_div_fmas_f32 v2, v2, v5, v6
	v_div_fixup_f32 v2, v2, s2, v4
	v_mul_f32_e32 v3, 0x437f0000, v2
	v_mul_f32_e32 v2, v2, v3
	v_cvt_i32_f32_e32 v2, v2
	v_lshlrev_b16_e32 v3, 8, v2
	v_or_b32_e32 v2, v2, v3
	v_lshlrev_b32_e32 v3, 16, v2
	v_or_b32_sdwa v2, v2, v3 dst_sel:DWORD dst_unused:UNUSED_PAD src0_sel:WORD_0 src1_sel:DWORD
	global_store_dword v[0:1], v2, off
	s_endpgm
	.section	.rodata,"a",@progbits
	.p2align	6, 0x0
	.amdhsa_kernel _Z16gamma_correctionP8ImgPixel
		.amdhsa_group_segment_fixed_size 0
		.amdhsa_private_segment_fixed_size 0
		.amdhsa_kernarg_size 264
		.amdhsa_user_sgpr_count 6
		.amdhsa_user_sgpr_private_segment_buffer 1
		.amdhsa_user_sgpr_dispatch_ptr 0
		.amdhsa_user_sgpr_queue_ptr 0
		.amdhsa_user_sgpr_kernarg_segment_ptr 1
		.amdhsa_user_sgpr_dispatch_id 0
		.amdhsa_user_sgpr_flat_scratch_init 0
		.amdhsa_user_sgpr_private_segment_size 0
		.amdhsa_uses_dynamic_stack 0
		.amdhsa_system_sgpr_private_segment_wavefront_offset 0
		.amdhsa_system_sgpr_workgroup_id_x 1
		.amdhsa_system_sgpr_workgroup_id_y 0
		.amdhsa_system_sgpr_workgroup_id_z 0
		.amdhsa_system_sgpr_workgroup_info 0
		.amdhsa_system_vgpr_workitem_id 0
		.amdhsa_next_free_vgpr 8
		.amdhsa_next_free_sgpr 7
		.amdhsa_reserve_vcc 1
		.amdhsa_reserve_flat_scratch 0
		.amdhsa_float_round_mode_32 0
		.amdhsa_float_round_mode_16_64 0
		.amdhsa_float_denorm_mode_32 3
		.amdhsa_float_denorm_mode_16_64 3
		.amdhsa_dx10_clamp 1
		.amdhsa_ieee_mode 1
		.amdhsa_fp16_overflow 0
		.amdhsa_exception_fp_ieee_invalid_op 0
		.amdhsa_exception_fp_denorm_src 0
		.amdhsa_exception_fp_ieee_div_zero 0
		.amdhsa_exception_fp_ieee_overflow 0
		.amdhsa_exception_fp_ieee_underflow 0
		.amdhsa_exception_fp_ieee_inexact 0
		.amdhsa_exception_int_div_zero 0
	.end_amdhsa_kernel
	.text
.Lfunc_end0:
	.size	_Z16gamma_correctionP8ImgPixel, .Lfunc_end0-_Z16gamma_correctionP8ImgPixel
                                        ; -- End function
	.set _Z16gamma_correctionP8ImgPixel.num_vgpr, 8
	.set _Z16gamma_correctionP8ImgPixel.num_agpr, 0
	.set _Z16gamma_correctionP8ImgPixel.numbered_sgpr, 7
	.set _Z16gamma_correctionP8ImgPixel.num_named_barrier, 0
	.set _Z16gamma_correctionP8ImgPixel.private_seg_size, 0
	.set _Z16gamma_correctionP8ImgPixel.uses_vcc, 1
	.set _Z16gamma_correctionP8ImgPixel.uses_flat_scratch, 0
	.set _Z16gamma_correctionP8ImgPixel.has_dyn_sized_stack, 0
	.set _Z16gamma_correctionP8ImgPixel.has_recursion, 0
	.set _Z16gamma_correctionP8ImgPixel.has_indirect_call, 0
	.section	.AMDGPU.csdata,"",@progbits
; Kernel info:
; codeLenInByte = 248
; TotalNumSgprs: 11
; NumVgprs: 8
; ScratchSize: 0
; MemoryBound: 0
; FloatMode: 240
; IeeeMode: 1
; LDSByteSize: 0 bytes/workgroup (compile time only)
; SGPRBlocks: 1
; VGPRBlocks: 1
; NumSGPRsForWavesPerEU: 11
; NumVGPRsForWavesPerEU: 8
; Occupancy: 10
; WaveLimiterHint : 0
; COMPUTE_PGM_RSRC2:SCRATCH_EN: 0
; COMPUTE_PGM_RSRC2:USER_SGPR: 6
; COMPUTE_PGM_RSRC2:TRAP_HANDLER: 0
; COMPUTE_PGM_RSRC2:TGID_X_EN: 1
; COMPUTE_PGM_RSRC2:TGID_Y_EN: 0
; COMPUTE_PGM_RSRC2:TGID_Z_EN: 0
; COMPUTE_PGM_RSRC2:TIDIG_COMP_CNT: 0
	.section	.AMDGPU.gpr_maximums,"",@progbits
	.set amdgpu.max_num_vgpr, 0
	.set amdgpu.max_num_agpr, 0
	.set amdgpu.max_num_sgpr, 0
	.section	.AMDGPU.csdata,"",@progbits
	.type	__hip_cuid_ccd4a5e9496668da,@object ; @__hip_cuid_ccd4a5e9496668da
	.section	.bss,"aw",@nobits
	.globl	__hip_cuid_ccd4a5e9496668da
__hip_cuid_ccd4a5e9496668da:
	.byte	0                               ; 0x0
	.size	__hip_cuid_ccd4a5e9496668da, 1

	.ident	"AMD clang version 22.0.0git (https://github.com/RadeonOpenCompute/llvm-project roc-7.2.4 26084 f58b06dce1f9c15707c5f808fd002e18c2accf7e)"
	.section	".note.GNU-stack","",@progbits
	.addrsig
	.addrsig_sym __hip_cuid_ccd4a5e9496668da
	.amdgpu_metadata
---
amdhsa.kernels:
  - .args:
      - .address_space:  global
        .offset:         0
        .size:           8
        .value_kind:     global_buffer
      - .offset:         8
        .size:           4
        .value_kind:     hidden_block_count_x
      - .offset:         12
        .size:           4
        .value_kind:     hidden_block_count_y
      - .offset:         16
        .size:           4
        .value_kind:     hidden_block_count_z
      - .offset:         20
        .size:           2
        .value_kind:     hidden_group_size_x
      - .offset:         22
        .size:           2
        .value_kind:     hidden_group_size_y
      - .offset:         24
        .size:           2
        .value_kind:     hidden_group_size_z
      - .offset:         26
        .size:           2
        .value_kind:     hidden_remainder_x
      - .offset:         28
        .size:           2
        .value_kind:     hidden_remainder_y
      - .offset:         30
        .size:           2
        .value_kind:     hidden_remainder_z
      - .offset:         48
        .size:           8
        .value_kind:     hidden_global_offset_x
      - .offset:         56
        .size:           8
        .value_kind:     hidden_global_offset_y
      - .offset:         64
        .size:           8
        .value_kind:     hidden_global_offset_z
      - .offset:         72
        .size:           2
        .value_kind:     hidden_grid_dims
    .group_segment_fixed_size: 0
    .kernarg_segment_align: 8
    .kernarg_segment_size: 264
    .language:       OpenCL C
    .language_version:
      - 2
      - 0
    .max_flat_workgroup_size: 1024
    .name:           _Z16gamma_correctionP8ImgPixel
    .private_segment_fixed_size: 0
    .sgpr_count:     11
    .sgpr_spill_count: 0
    .symbol:         _Z16gamma_correctionP8ImgPixel.kd
    .uniform_work_group_size: 1
    .uses_dynamic_stack: false
    .vgpr_count:     8
    .vgpr_spill_count: 0
    .wavefront_size: 64
amdhsa.target:   amdgcn-amd-amdhsa--gfx906
amdhsa.version:
  - 1
  - 2
...

	.end_amdgpu_metadata
